;; amdgpu-corpus repo=ROCm/rocFFT kind=compiled arch=gfx906 opt=O3
	.text
	.amdgcn_target "amdgcn-amd-amdhsa--gfx906"
	.amdhsa_code_object_version 6
	.protected	fft_rtc_back_len56_factors_7_4_2_wgs_128_tpt_8_dim2_dp_ip_CI_unitstride_sbrr_dirReg ; -- Begin function fft_rtc_back_len56_factors_7_4_2_wgs_128_tpt_8_dim2_dp_ip_CI_unitstride_sbrr_dirReg
	.globl	fft_rtc_back_len56_factors_7_4_2_wgs_128_tpt_8_dim2_dp_ip_CI_unitstride_sbrr_dirReg
	.p2align	8
	.type	fft_rtc_back_len56_factors_7_4_2_wgs_128_tpt_8_dim2_dp_ip_CI_unitstride_sbrr_dirReg,@function
fft_rtc_back_len56_factors_7_4_2_wgs_128_tpt_8_dim2_dp_ip_CI_unitstride_sbrr_dirReg: ; @fft_rtc_back_len56_factors_7_4_2_wgs_128_tpt_8_dim2_dp_ip_CI_unitstride_sbrr_dirReg
; %bb.0:
	s_load_dwordx4 s[0:3], s[4:5], 0x8
	v_lshrrev_b32_e32 v28, 3, v0
	v_mov_b32_e32 v2, 0
	v_lshl_or_b32 v1, s6, 4, v28
	v_mov_b32_e32 v3, 0
	s_waitcnt lgkmcnt(0)
	s_load_dwordx2 s[8:9], s[0:1], 0x8
	v_mov_b32_e32 v4, 0
	s_load_dwordx2 s[0:1], s[2:3], 0x8
	s_waitcnt lgkmcnt(0)
	v_cmp_le_u64_e32 vcc, s[8:9], v[1:2]
	s_and_saveexec_b64 s[6:7], vcc
	s_cbranch_execz .LBB0_2
; %bb.1:
	v_cvt_f32_u32_e32 v3, s8
	s_sub_i32 s10, 0, s8
	v_rcp_iflag_f32_e32 v3, v3
	v_mul_f32_e32 v3, 0x4f7ffffe, v3
	v_cvt_u32_f32_e32 v3, v3
	v_mul_lo_u32 v4, s10, v3
	v_mul_hi_u32 v4, v3, v4
	v_add_u32_e32 v3, v3, v4
	v_mul_hi_u32 v3, v1, v3
	v_mul_lo_u32 v4, v3, s8
	v_add_u32_e32 v5, 1, v3
	v_sub_u32_e32 v4, v1, v4
	v_subrev_u32_e32 v6, s8, v4
	v_cmp_le_u32_e32 vcc, s8, v4
	v_cndmask_b32_e32 v4, v4, v6, vcc
	v_cndmask_b32_e32 v3, v3, v5, vcc
	v_add_u32_e32 v5, 1, v3
	v_cmp_le_u32_e32 vcc, s8, v4
	v_cndmask_b32_e32 v3, v3, v5, vcc
	v_mov_b32_e32 v4, v2
.LBB0_2:
	s_or_b64 exec, exec, s[6:7]
	v_mad_u64_u32 v[5:6], s[6:7], v3, s8, 0
	v_and_b32_e32 v36, 7, v0
	v_or_b32_e32 v32, 8, v36
	v_mov_b32_e32 v2, v6
	v_mad_u64_u32 v[6:7], s[6:7], v3, s9, v[2:3]
	v_sub_co_u32_e32 v1, vcc, v1, v5
	v_mov_b32_e32 v2, v6
	v_subb_co_u32_e32 v2, vcc, 0, v2, vcc
	v_mul_lo_u32 v5, s1, v1
	v_mul_lo_u32 v6, s0, v2
	v_mad_u64_u32 v[1:2], s[0:1], s0, v1, 0
	s_load_dwordx2 s[0:1], s[2:3], 0x10
	v_add3_u32 v2, v2, v6, v5
	s_waitcnt lgkmcnt(0)
	v_mad_u64_u32 v[1:2], s[2:3], s0, v3, v[1:2]
	s_load_dwordx2 s[2:3], s[4:5], 0x18
	s_load_dwordx2 s[6:7], s[4:5], 0x48
	v_mad_u64_u32 v[5:6], s[0:1], s1, v3, v[2:3]
	s_waitcnt lgkmcnt(0)
	v_cmp_gt_u64_e32 vcc, s[2:3], v[3:4]
	v_cmp_le_u64_e64 s[0:1], s[2:3], v[3:4]
	s_and_saveexec_b64 s[2:3], s[0:1]
	s_xor_b64 s[0:1], exec, s[2:3]
; %bb.3:
	v_or_b32_e32 v32, 8, v36
; %bb.4:
	s_or_saveexec_b64 s[2:3], s[0:1]
	s_load_dwordx2 s[4:5], s[4:5], 0x0
	v_mov_b32_e32 v2, v5
	v_lshlrev_b64 v[34:35], 4, v[1:2]
	v_lshlrev_b32_e32 v37, 4, v36
                                        ; implicit-def: $vgpr6_vgpr7
                                        ; implicit-def: $vgpr10_vgpr11
                                        ; implicit-def: $vgpr22_vgpr23
                                        ; implicit-def: $vgpr26_vgpr27
                                        ; implicit-def: $vgpr18_vgpr19
                                        ; implicit-def: $vgpr14_vgpr15
                                        ; implicit-def: $vgpr2_vgpr3
	s_xor_b64 exec, exec, s[2:3]
	s_cbranch_execz .LBB0_6
; %bb.5:
	v_mov_b32_e32 v0, s7
	v_add_co_u32_e64 v1, s[0:1], s6, v34
	v_addc_co_u32_e64 v0, s[0:1], v0, v35, s[0:1]
	v_add_co_u32_e64 v29, s[0:1], v1, v37
	v_addc_co_u32_e64 v30, s[0:1], 0, v0, s[0:1]
	global_load_dwordx4 v[0:3], v[29:30], off
	global_load_dwordx4 v[4:7], v[29:30], off offset:128
	global_load_dwordx4 v[8:11], v[29:30], off offset:256
	;; [unrolled: 1-line block ×6, first 2 shown]
.LBB0_6:
	s_or_b64 exec, exec, s[2:3]
	s_waitcnt vmcnt(0)
	v_add_f64 v[29:30], v[4:5], v[24:25]
	v_add_f64 v[40:41], v[8:9], v[20:21]
	;; [unrolled: 1-line block ×4, first 2 shown]
	v_add_f64 v[4:5], v[4:5], -v[24:25]
	v_add_f64 v[24:25], v[16:17], v[12:13]
	v_add_f64 v[44:45], v[18:19], v[14:15]
	v_add_f64 v[8:9], v[8:9], -v[20:21]
	v_add_f64 v[10:11], v[10:11], -v[22:23]
	v_add_f64 v[46:47], v[40:41], v[29:30]
	v_add_f64 v[16:17], v[16:17], -v[12:13]
	v_add_f64 v[48:49], v[42:43], v[38:39]
	v_add_f64 v[18:19], v[18:19], -v[14:15]
	v_add_f64 v[6:7], v[6:7], -v[26:27]
	;; [unrolled: 1-line block ×4, first 2 shown]
	s_mov_b32 s0, 0x36b3c0b5
	v_add_f64 v[22:23], v[46:47], v[24:25]
	v_add_f64 v[24:25], v[29:30], -v[24:25]
	v_add_f64 v[26:27], v[48:49], v[44:45]
	v_add_f64 v[29:30], v[42:43], -v[38:39]
	;; [unrolled: 2-line block ×3, first 2 shown]
	v_add_f64 v[48:49], v[10:11], v[18:19]
	s_mov_b32 s1, 0x3fac98ee
	v_add_f64 v[12:13], v[0:1], v[22:23]
	v_add_f64 v[0:1], v[38:39], -v[44:45]
	s_mov_b32 s2, 0x37e14327
	v_add_f64 v[14:15], v[2:3], v[26:27]
	v_add_f64 v[2:3], v[16:17], -v[8:9]
	v_add_f64 v[8:9], v[8:9], -v[4:5]
	v_add_f64 v[38:39], v[4:5], v[46:47]
	v_add_f64 v[4:5], v[4:5], -v[16:17]
	v_add_f64 v[16:17], v[18:19], -v[10:11]
	;; [unrolled: 1-line block ×3, first 2 shown]
	v_add_f64 v[44:45], v[6:7], v[48:49]
	v_add_f64 v[6:7], v[6:7], -v[18:19]
	v_mul_f64 v[18:19], v[40:41], s[0:1]
	v_mul_f64 v[40:41], v[42:43], s[0:1]
	s_mov_b32 s3, 0x3fe948f6
	v_mul_f64 v[42:43], v[24:25], s[2:3]
	v_mul_f64 v[46:47], v[0:1], s[2:3]
	s_mov_b32 s1, 0x3fe77f67
	s_mov_b32 s0, 0x5476071b
	;; [unrolled: 1-line block ×3, first 2 shown]
	v_fma_f64 v[48:49], v[20:21], s[0:1], -v[18:19]
	v_fma_f64 v[50:51], v[29:30], s[0:1], -v[40:41]
	s_mov_b32 s1, 0xbfe77f67
	s_mov_b32 s9, 0x3fe11646
	v_fma_f64 v[20:21], v[20:21], s[0:1], -v[42:43]
	v_fma_f64 v[29:30], v[29:30], s[0:1], -v[46:47]
	s_mov_b32 s0, 0x429ad128
	v_mul_f64 v[16:17], v[16:17], s[8:9]
	v_mul_f64 v[2:3], v[2:3], s[8:9]
	s_mov_b32 s1, 0xbfebfeb5
	v_mul_f64 v[42:43], v[10:11], s[0:1]
	v_mul_f64 v[52:53], v[8:9], s[0:1]
	s_mov_b32 s9, 0xbfd5d0dc
	s_mov_b32 s8, 0xb247c609
	;; [unrolled: 1-line block ×3, first 2 shown]
	v_fma_f64 v[10:11], v[10:11], s[0:1], -v[16:17]
	v_fma_f64 v[16:17], v[6:7], s[8:9], v[16:17]
	v_fma_f64 v[46:47], v[4:5], s[8:9], v[2:3]
	s_mov_b32 s11, 0xbff2aaaa
	s_mov_b32 s9, 0x3fd5d0dc
	v_fma_f64 v[22:23], v[22:23], s[10:11], v[12:13]
	v_fma_f64 v[18:19], v[24:25], s[2:3], v[18:19]
	;; [unrolled: 1-line block ×3, first 2 shown]
	v_fma_f64 v[6:7], v[6:7], s[8:9], -v[42:43]
	v_fma_f64 v[2:3], v[8:9], s[0:1], -v[2:3]
	;; [unrolled: 1-line block ×3, first 2 shown]
	v_fma_f64 v[0:1], v[0:1], s[2:3], v[40:41]
	s_mov_b32 s0, 0x37c3f68c
	s_mov_b32 s1, 0xbfdc38aa
	v_add_f64 v[26:27], v[22:23], v[20:21]
	v_add_f64 v[40:41], v[22:23], v[18:19]
	;; [unrolled: 1-line block ×3, first 2 shown]
	v_fma_f64 v[10:11], v[44:45], s[0:1], v[10:11]
	v_fma_f64 v[2:3], v[38:39], s[0:1], v[2:3]
	v_add_f64 v[29:30], v[24:25], v[29:30]
	v_add_f64 v[42:43], v[24:25], v[0:1]
	v_fma_f64 v[6:7], v[44:45], s[0:1], v[6:7]
	v_fma_f64 v[24:25], v[38:39], s[0:1], v[4:5]
	;; [unrolled: 1-line block ×4, first 2 shown]
	v_add_f64 v[8:9], v[22:23], v[48:49]
	v_add_f64 v[18:19], v[20:21], v[2:3]
	v_add_f64 v[2:3], v[20:21], -v[2:3]
	s_movk_i32 s0, 0x70
	v_add_f64 v[20:21], v[6:7], v[26:27]
	v_add_f64 v[22:23], v[29:30], -v[24:25]
	v_add_f64 v[4:5], v[26:27], -v[6:7]
	v_add_f64 v[6:7], v[29:30], v[24:25]
	v_add_f64 v[24:25], v[44:45], v[40:41]
	v_add_f64 v[26:27], v[42:43], -v[38:39]
	v_add_f64 v[16:17], v[8:9], -v[10:11]
	v_add_f64 v[0:1], v[10:11], v[8:9]
	v_add_f64 v[8:9], v[40:41], -v[44:45]
	v_mul_u32_u24_e32 v40, 56, v28
	v_add_f64 v[10:11], v[42:43], v[38:39]
	v_lshl_add_u32 v28, v40, 4, 0
	v_mad_u32_u24 v29, v36, s0, v28
	v_lshl_add_u32 v38, v36, 4, v28
	s_movk_i32 s0, 0xffa0
	ds_write_b128 v29, v[12:15]
	ds_write_b128 v29, v[24:27] offset:16
	ds_write_b128 v29, v[20:23] offset:32
	ds_write_b128 v29, v[16:19] offset:48
	ds_write_b128 v29, v[0:3] offset:64
	ds_write_b128 v29, v[4:7] offset:80
	ds_write_b128 v29, v[8:11] offset:96
	s_waitcnt lgkmcnt(0)
	s_barrier
	v_mad_i32_i24 v33, v36, s0, v29
	ds_read_b128 v[12:15], v38
	ds_read_b128 v[28:31], v33 offset:224
	ds_read_b128 v[24:27], v33 offset:448
	;; [unrolled: 1-line block ×3, first 2 shown]
	v_cmp_gt_u32_e64 s[0:1], 6, v36
	v_lshlrev_b32_e32 v39, 4, v32
	v_lshlrev_b32_e32 v40, 4, v40
                                        ; implicit-def: $vgpr22_vgpr23
	s_and_saveexec_b64 s[2:3], s[0:1]
	s_cbranch_execz .LBB0_8
; %bb.7:
	v_add3_u32 v0, 0, v39, v40
	ds_read_b128 v[4:7], v33 offset:352
	ds_read_b128 v[8:11], v33 offset:576
	ds_read_b128 v[0:3], v0
	ds_read_b128 v[20:23], v33 offset:800
.LBB0_8:
	s_or_b64 exec, exec, s[2:3]
	v_cmp_eq_u32_e64 s[2:3], 7, v36
	v_cndmask_b32_e64 v60, v36, 0, s[2:3]
	v_mul_u32_u24_e32 v41, 3, v60
	v_lshlrev_b32_e32 v41, 4, v41
	global_load_dwordx4 v[42:45], v41, s[4:5]
	global_load_dwordx4 v[46:49], v41, s[4:5] offset:16
	v_mov_b32_e32 v50, 37
	v_mul_lo_u16_sdwa v50, v32, v50 dst_sel:DWORD dst_unused:UNUSED_PAD src0_sel:BYTE_0 src1_sel:DWORD
	v_sub_u16_sdwa v51, v32, v50 dst_sel:DWORD dst_unused:UNUSED_PAD src0_sel:DWORD src1_sel:BYTE_1
	v_lshrrev_b16_e32 v51, 1, v51
	v_and_b32_e32 v51, 0x7f, v51
	v_add_u16_sdwa v50, v51, v50 dst_sel:DWORD dst_unused:UNUSED_PAD src0_sel:DWORD src1_sel:BYTE_1
	v_lshrrev_b16_e32 v57, 2, v50
	global_load_dwordx4 v[50:53], v41, s[4:5] offset:32
	v_mul_lo_u16_e32 v41, 7, v57
	v_mov_b32_e32 v56, 3
	v_sub_u16_e32 v41, v32, v41
	v_mul_u32_u24_sdwa v56, v41, v56 dst_sel:DWORD dst_unused:UNUSED_PAD src0_sel:BYTE_0 src1_sel:DWORD
	v_lshlrev_b32_e32 v61, 4, v56
	s_waitcnt vmcnt(2) lgkmcnt(2)
	v_mul_f64 v[54:55], v[30:31], v[44:45]
	v_mul_f64 v[44:45], v[28:29], v[44:45]
	s_waitcnt vmcnt(1) lgkmcnt(1)
	v_mul_f64 v[56:57], v[26:27], v[48:49]
	v_mul_f64 v[48:49], v[24:25], v[48:49]
	v_fma_f64 v[54:55], v[28:29], v[42:43], v[54:55]
	v_fma_f64 v[58:59], v[30:31], v[42:43], -v[44:45]
	global_load_dwordx4 v[28:31], v61, s[4:5]
	global_load_dwordx4 v[42:45], v61, s[4:5] offset:16
	v_fma_f64 v[56:57], v[24:25], v[46:47], v[56:57]
	v_fma_f64 v[46:47], v[26:27], v[46:47], -v[48:49]
	global_load_dwordx4 v[24:27], v61, s[4:5] offset:32
	s_waitcnt vmcnt(3) lgkmcnt(0)
	v_mul_f64 v[48:49], v[18:19], v[52:53]
	v_mul_f64 v[52:53], v[16:17], v[52:53]
	v_mov_b32_e32 v61, 0x1c0
	v_cndmask_b32_e64 v61, 0, v61, s[2:3]
	s_waitcnt vmcnt(0)
	s_barrier
	v_fma_f64 v[16:17], v[16:17], v[50:51], v[48:49]
	v_fma_f64 v[18:19], v[18:19], v[50:51], -v[52:53]
	v_lshlrev_b32_e32 v50, 4, v60
	v_add_u32_e32 v51, 0, v61
	v_add3_u32 v60, v51, v50, v40
	v_mul_f64 v[48:49], v[6:7], v[30:31]
	v_mul_f64 v[30:31], v[4:5], v[30:31]
	;; [unrolled: 1-line block ×6, first 2 shown]
	v_fma_f64 v[4:5], v[4:5], v[28:29], v[48:49]
	v_fma_f64 v[6:7], v[6:7], v[28:29], -v[30:31]
	v_add_f64 v[28:29], v[12:13], -v[56:57]
	v_add_f64 v[30:31], v[14:15], -v[46:47]
	v_add_f64 v[46:47], v[54:55], -v[16:17]
	v_add_f64 v[16:17], v[58:59], -v[18:19]
	v_fma_f64 v[8:9], v[8:9], v[42:43], v[50:51]
	v_fma_f64 v[10:11], v[10:11], v[42:43], -v[44:45]
	v_fma_f64 v[18:19], v[20:21], v[24:25], v[52:53]
	v_fma_f64 v[20:21], v[22:23], v[24:25], -v[26:27]
	v_fma_f64 v[42:43], v[12:13], 2.0, -v[28:29]
	v_fma_f64 v[44:45], v[14:15], 2.0, -v[30:31]
	;; [unrolled: 1-line block ×4, first 2 shown]
	v_add_f64 v[8:9], v[0:1], -v[8:9]
	v_add_f64 v[14:15], v[2:3], -v[10:11]
	;; [unrolled: 1-line block ×4, first 2 shown]
	v_add_f64 v[16:17], v[28:29], v[16:17]
	v_add_f64 v[18:19], v[30:31], -v[46:47]
	v_add_f64 v[20:21], v[42:43], -v[12:13]
	;; [unrolled: 1-line block ×3, first 2 shown]
	v_fma_f64 v[10:11], v[0:1], 2.0, -v[8:9]
	v_fma_f64 v[12:13], v[2:3], 2.0, -v[14:15]
	;; [unrolled: 1-line block ×6, first 2 shown]
	v_add_f64 v[4:5], v[8:9], v[50:51]
	v_add_f64 v[6:7], v[14:15], -v[48:49]
	v_fma_f64 v[28:29], v[42:43], 2.0, -v[20:21]
	v_fma_f64 v[30:31], v[44:45], 2.0, -v[22:23]
	v_add_f64 v[0:1], v[10:11], -v[0:1]
	v_add_f64 v[2:3], v[12:13], -v[2:3]
	ds_write_b128 v60, v[24:27] offset:112
	ds_write_b128 v60, v[20:23] offset:224
	ds_write_b128 v60, v[28:31]
	ds_write_b128 v60, v[16:19] offset:336
	s_and_saveexec_b64 s[2:3], s[0:1]
	s_cbranch_execz .LBB0_10
; %bb.9:
	v_fma_f64 v[18:19], v[12:13], 2.0, -v[2:3]
	v_fma_f64 v[16:17], v[10:11], 2.0, -v[0:1]
	;; [unrolled: 1-line block ×4, first 2 shown]
	v_mov_b32_e32 v8, 4
	v_lshlrev_b32_sdwa v8, v8, v41 dst_sel:DWORD dst_unused:UNUSED_PAD src0_sel:DWORD src1_sel:BYTE_0
	v_add3_u32 v8, 0, v8, v40
	ds_write_b128 v8, v[16:19] offset:448
	ds_write_b128 v8, v[12:15] offset:560
	;; [unrolled: 1-line block ×4, first 2 shown]
.LBB0_10:
	s_or_b64 exec, exec, s[2:3]
	v_add3_u32 v12, 0, v39, v40
	s_waitcnt lgkmcnt(0)
	s_barrier
	ds_read_b128 v[20:23], v33 offset:448
	ds_read_b128 v[24:27], v33 offset:576
	ds_read_b128 v[8:11], v38
	ds_read_b128 v[16:19], v33 offset:256
	ds_read_b128 v[12:15], v12
	ds_read_b128 v[28:31], v33 offset:704
	v_cmp_gt_u32_e64 s[0:1], 4, v36
	s_and_saveexec_b64 s[2:3], s[0:1]
	s_cbranch_execz .LBB0_12
; %bb.11:
	ds_read_b128 v[0:3], v33 offset:384
	ds_read_b128 v[4:7], v33 offset:832
.LBB0_12:
	s_or_b64 exec, exec, s[2:3]
	s_and_saveexec_b64 s[0:1], vcc
	s_cbranch_execz .LBB0_15
; %bb.13:
	v_mov_b32_e32 v33, 0
	v_lshlrev_b64 v[42:43], 4, v[32:33]
	v_mov_b32_e32 v32, s5
	v_add_co_u32_e32 v50, vcc, s4, v42
	global_load_dwordx4 v[38:41], v37, s[4:5] offset:592
	v_addc_co_u32_e32 v51, vcc, v32, v43, vcc
	global_load_dwordx4 v[42:45], v[50:51], off offset:336
	global_load_dwordx4 v[46:49], v37, s[4:5] offset:336
	v_add_co_u32_e64 v34, s[0:1], s6, v34
	v_or_b32_e32 v32, 24, v36
	v_cmp_gt_u32_e32 vcc, 28, v32
	s_waitcnt vmcnt(2) lgkmcnt(0)
	v_mul_f64 v[50:51], v[28:29], v[40:41]
	v_mul_f64 v[40:41], v[30:31], v[40:41]
	s_waitcnt vmcnt(1)
	v_mul_f64 v[52:53], v[24:25], v[44:45]
	s_waitcnt vmcnt(0)
	v_mul_f64 v[54:55], v[20:21], v[48:49]
	v_mul_f64 v[48:49], v[22:23], v[48:49]
	;; [unrolled: 1-line block ×3, first 2 shown]
	v_fma_f64 v[30:31], v[30:31], v[38:39], -v[50:51]
	v_fma_f64 v[28:29], v[28:29], v[38:39], v[40:41]
	v_fma_f64 v[26:27], v[26:27], v[42:43], -v[52:53]
	v_fma_f64 v[38:39], v[22:23], v[46:47], -v[54:55]
	v_fma_f64 v[40:41], v[20:21], v[46:47], v[48:49]
	v_fma_f64 v[24:25], v[24:25], v[42:43], v[44:45]
	v_mov_b32_e32 v42, s7
	v_addc_co_u32_e64 v35, s[0:1], v42, v35, s[0:1]
	v_add_f64 v[22:23], v[18:19], -v[30:31]
	v_add_f64 v[20:21], v[16:17], -v[28:29]
	;; [unrolled: 1-line block ×6, first 2 shown]
	v_fma_f64 v[18:19], v[18:19], 2.0, -v[22:23]
	v_fma_f64 v[16:17], v[16:17], 2.0, -v[20:21]
	;; [unrolled: 1-line block ×6, first 2 shown]
	v_add_co_u32_e64 v8, s[0:1], v34, v37
	v_addc_co_u32_e64 v9, s[0:1], 0, v35, s[0:1]
	global_store_dwordx4 v[8:9], v[28:31], off offset:448
	global_store_dwordx4 v[8:9], v[24:27], off offset:576
	;; [unrolled: 1-line block ×3, first 2 shown]
	global_store_dwordx4 v[8:9], v[38:41], off
	global_store_dwordx4 v[8:9], v[12:15], off offset:128
	global_store_dwordx4 v[8:9], v[20:23], off offset:704
	s_and_b64 exec, exec, vcc
	s_cbranch_execz .LBB0_15
; %bb.14:
	v_add_u32_e32 v10, -4, v36
	v_cndmask_b32_e32 v32, v10, v32, vcc
	v_lshlrev_b64 v[10:11], 4, v[32:33]
	v_mov_b32_e32 v12, s5
	v_add_co_u32_e32 v10, vcc, s4, v10
	v_addc_co_u32_e32 v11, vcc, v12, v11, vcc
	global_load_dwordx4 v[10:13], v[10:11], off offset:336
	s_waitcnt vmcnt(0)
	v_mul_f64 v[14:15], v[6:7], v[12:13]
	v_mul_f64 v[12:13], v[4:5], v[12:13]
	v_fma_f64 v[4:5], v[4:5], v[10:11], v[14:15]
	v_fma_f64 v[6:7], v[6:7], v[10:11], -v[12:13]
	v_add_f64 v[4:5], v[0:1], -v[4:5]
	v_add_f64 v[6:7], v[2:3], -v[6:7]
	v_fma_f64 v[0:1], v[0:1], 2.0, -v[4:5]
	v_fma_f64 v[2:3], v[2:3], 2.0, -v[6:7]
	global_store_dwordx4 v[8:9], v[0:3], off offset:384
	global_store_dwordx4 v[8:9], v[4:7], off offset:832
.LBB0_15:
	s_endpgm
	.section	.rodata,"a",@progbits
	.p2align	6, 0x0
	.amdhsa_kernel fft_rtc_back_len56_factors_7_4_2_wgs_128_tpt_8_dim2_dp_ip_CI_unitstride_sbrr_dirReg
		.amdhsa_group_segment_fixed_size 0
		.amdhsa_private_segment_fixed_size 0
		.amdhsa_kernarg_size 80
		.amdhsa_user_sgpr_count 6
		.amdhsa_user_sgpr_private_segment_buffer 1
		.amdhsa_user_sgpr_dispatch_ptr 0
		.amdhsa_user_sgpr_queue_ptr 0
		.amdhsa_user_sgpr_kernarg_segment_ptr 1
		.amdhsa_user_sgpr_dispatch_id 0
		.amdhsa_user_sgpr_flat_scratch_init 0
		.amdhsa_user_sgpr_private_segment_size 0
		.amdhsa_uses_dynamic_stack 0
		.amdhsa_system_sgpr_private_segment_wavefront_offset 0
		.amdhsa_system_sgpr_workgroup_id_x 1
		.amdhsa_system_sgpr_workgroup_id_y 0
		.amdhsa_system_sgpr_workgroup_id_z 0
		.amdhsa_system_sgpr_workgroup_info 0
		.amdhsa_system_vgpr_workitem_id 0
		.amdhsa_next_free_vgpr 62
		.amdhsa_next_free_sgpr 12
		.amdhsa_reserve_vcc 1
		.amdhsa_reserve_flat_scratch 0
		.amdhsa_float_round_mode_32 0
		.amdhsa_float_round_mode_16_64 0
		.amdhsa_float_denorm_mode_32 3
		.amdhsa_float_denorm_mode_16_64 3
		.amdhsa_dx10_clamp 1
		.amdhsa_ieee_mode 1
		.amdhsa_fp16_overflow 0
		.amdhsa_exception_fp_ieee_invalid_op 0
		.amdhsa_exception_fp_denorm_src 0
		.amdhsa_exception_fp_ieee_div_zero 0
		.amdhsa_exception_fp_ieee_overflow 0
		.amdhsa_exception_fp_ieee_underflow 0
		.amdhsa_exception_fp_ieee_inexact 0
		.amdhsa_exception_int_div_zero 0
	.end_amdhsa_kernel
	.text
.Lfunc_end0:
	.size	fft_rtc_back_len56_factors_7_4_2_wgs_128_tpt_8_dim2_dp_ip_CI_unitstride_sbrr_dirReg, .Lfunc_end0-fft_rtc_back_len56_factors_7_4_2_wgs_128_tpt_8_dim2_dp_ip_CI_unitstride_sbrr_dirReg
                                        ; -- End function
	.section	.AMDGPU.csdata,"",@progbits
; Kernel info:
; codeLenInByte = 2764
; NumSgprs: 16
; NumVgprs: 62
; ScratchSize: 0
; MemoryBound: 1
; FloatMode: 240
; IeeeMode: 1
; LDSByteSize: 0 bytes/workgroup (compile time only)
; SGPRBlocks: 1
; VGPRBlocks: 15
; NumSGPRsForWavesPerEU: 16
; NumVGPRsForWavesPerEU: 62
; Occupancy: 4
; WaveLimiterHint : 1
; COMPUTE_PGM_RSRC2:SCRATCH_EN: 0
; COMPUTE_PGM_RSRC2:USER_SGPR: 6
; COMPUTE_PGM_RSRC2:TRAP_HANDLER: 0
; COMPUTE_PGM_RSRC2:TGID_X_EN: 1
; COMPUTE_PGM_RSRC2:TGID_Y_EN: 0
; COMPUTE_PGM_RSRC2:TGID_Z_EN: 0
; COMPUTE_PGM_RSRC2:TIDIG_COMP_CNT: 0
	.type	__hip_cuid_e586d21311956dc6,@object ; @__hip_cuid_e586d21311956dc6
	.section	.bss,"aw",@nobits
	.globl	__hip_cuid_e586d21311956dc6
__hip_cuid_e586d21311956dc6:
	.byte	0                               ; 0x0
	.size	__hip_cuid_e586d21311956dc6, 1

	.ident	"AMD clang version 19.0.0git (https://github.com/RadeonOpenCompute/llvm-project roc-6.4.0 25133 c7fe45cf4b819c5991fe208aaa96edf142730f1d)"
	.section	".note.GNU-stack","",@progbits
	.addrsig
	.addrsig_sym __hip_cuid_e586d21311956dc6
	.amdgpu_metadata
---
amdhsa.kernels:
  - .args:
      - .actual_access:  read_only
        .address_space:  global
        .offset:         0
        .size:           8
        .value_kind:     global_buffer
      - .actual_access:  read_only
        .address_space:  global
        .offset:         8
        .size:           8
        .value_kind:     global_buffer
      - .actual_access:  read_only
        .address_space:  global
        .offset:         16
        .size:           8
        .value_kind:     global_buffer
      - .offset:         24
        .size:           8
        .value_kind:     by_value
      - .actual_access:  read_only
        .address_space:  global
        .offset:         32
        .size:           8
        .value_kind:     global_buffer
      - .actual_access:  read_only
        .address_space:  global
        .offset:         40
        .size:           8
        .value_kind:     global_buffer
      - .offset:         48
        .size:           4
        .value_kind:     by_value
      - .actual_access:  read_only
        .address_space:  global
        .offset:         56
        .size:           8
        .value_kind:     global_buffer
      - .actual_access:  read_only
        .address_space:  global
        .offset:         64
        .size:           8
        .value_kind:     global_buffer
      - .address_space:  global
        .offset:         72
        .size:           8
        .value_kind:     global_buffer
    .group_segment_fixed_size: 0
    .kernarg_segment_align: 8
    .kernarg_segment_size: 80
    .language:       OpenCL C
    .language_version:
      - 2
      - 0
    .max_flat_workgroup_size: 128
    .name:           fft_rtc_back_len56_factors_7_4_2_wgs_128_tpt_8_dim2_dp_ip_CI_unitstride_sbrr_dirReg
    .private_segment_fixed_size: 0
    .sgpr_count:     16
    .sgpr_spill_count: 0
    .symbol:         fft_rtc_back_len56_factors_7_4_2_wgs_128_tpt_8_dim2_dp_ip_CI_unitstride_sbrr_dirReg.kd
    .uniform_work_group_size: 1
    .uses_dynamic_stack: false
    .vgpr_count:     62
    .vgpr_spill_count: 0
    .wavefront_size: 64
amdhsa.target:   amdgcn-amd-amdhsa--gfx906
amdhsa.version:
  - 1
  - 2
...

	.end_amdgpu_metadata
